;; amdgpu-corpus repo=ROCm/rocFFT kind=compiled arch=gfx1201 opt=O3
	.text
	.amdgcn_target "amdgcn-amd-amdhsa--gfx1201"
	.amdhsa_code_object_version 6
	.protected	fft_rtc_back_len1053_factors_3_3_13_3_3_wgs_117_tpt_117_halfLds_dp_op_CI_CI_sbrr_dirReg ; -- Begin function fft_rtc_back_len1053_factors_3_3_13_3_3_wgs_117_tpt_117_halfLds_dp_op_CI_CI_sbrr_dirReg
	.globl	fft_rtc_back_len1053_factors_3_3_13_3_3_wgs_117_tpt_117_halfLds_dp_op_CI_CI_sbrr_dirReg
	.p2align	8
	.type	fft_rtc_back_len1053_factors_3_3_13_3_3_wgs_117_tpt_117_halfLds_dp_op_CI_CI_sbrr_dirReg,@function
fft_rtc_back_len1053_factors_3_3_13_3_3_wgs_117_tpt_117_halfLds_dp_op_CI_CI_sbrr_dirReg: ; @fft_rtc_back_len1053_factors_3_3_13_3_3_wgs_117_tpt_117_halfLds_dp_op_CI_CI_sbrr_dirReg
; %bb.0:
	s_clause 0x2
	s_load_b128 s[12:15], s[0:1], 0x18
	s_load_b128 s[8:11], s[0:1], 0x0
	;; [unrolled: 1-line block ×3, first 2 shown]
	v_mul_u32_u24_e32 v1, 0x231, v0
	v_mov_b32_e32 v4, 0
	v_mov_b32_e32 v5, 0
	s_wait_kmcnt 0x0
	s_load_b64 s[18:19], s[12:13], 0x0
	s_load_b64 s[16:17], s[14:15], 0x0
	v_lshrrev_b32_e32 v2, 16, v1
	v_mov_b32_e32 v1, 0
	v_cmp_lt_u64_e64 s2, s[10:11], 2
	s_delay_alu instid0(VALU_DEP_2) | instskip(NEXT) | instid1(VALU_DEP_2)
	v_dual_mov_b32 v7, v1 :: v_dual_add_nc_u32 v6, ttmp9, v2
	s_and_b32 vcc_lo, exec_lo, s2
	s_cbranch_vccnz .LBB0_8
; %bb.1:
	s_load_b64 s[2:3], s[0:1], 0x10
	v_mov_b32_e32 v4, 0
	v_mov_b32_e32 v5, 0
	s_add_nc_u64 s[20:21], s[14:15], 8
	s_add_nc_u64 s[22:23], s[12:13], 8
	s_mov_b64 s[24:25], 1
	s_delay_alu instid0(VALU_DEP_1)
	v_dual_mov_b32 v49, v5 :: v_dual_mov_b32 v48, v4
	s_wait_kmcnt 0x0
	s_add_nc_u64 s[26:27], s[2:3], 8
	s_mov_b32 s3, 0
.LBB0_2:                                ; =>This Inner Loop Header: Depth=1
	s_load_b64 s[28:29], s[26:27], 0x0
                                        ; implicit-def: $vgpr50_vgpr51
	s_mov_b32 s2, exec_lo
	s_wait_kmcnt 0x0
	v_or_b32_e32 v2, s29, v7
	s_delay_alu instid0(VALU_DEP_1)
	v_cmpx_ne_u64_e32 0, v[1:2]
	s_wait_alu 0xfffe
	s_xor_b32 s30, exec_lo, s2
	s_cbranch_execz .LBB0_4
; %bb.3:                                ;   in Loop: Header=BB0_2 Depth=1
	s_cvt_f32_u32 s2, s28
	s_cvt_f32_u32 s31, s29
	s_sub_nc_u64 s[36:37], 0, s[28:29]
	s_wait_alu 0xfffe
	s_delay_alu instid0(SALU_CYCLE_1) | instskip(SKIP_1) | instid1(SALU_CYCLE_2)
	s_fmamk_f32 s2, s31, 0x4f800000, s2
	s_wait_alu 0xfffe
	v_s_rcp_f32 s2, s2
	s_delay_alu instid0(TRANS32_DEP_1) | instskip(SKIP_1) | instid1(SALU_CYCLE_2)
	s_mul_f32 s2, s2, 0x5f7ffffc
	s_wait_alu 0xfffe
	s_mul_f32 s31, s2, 0x2f800000
	s_wait_alu 0xfffe
	s_delay_alu instid0(SALU_CYCLE_2) | instskip(SKIP_1) | instid1(SALU_CYCLE_2)
	s_trunc_f32 s31, s31
	s_wait_alu 0xfffe
	s_fmamk_f32 s2, s31, 0xcf800000, s2
	s_cvt_u32_f32 s35, s31
	s_wait_alu 0xfffe
	s_delay_alu instid0(SALU_CYCLE_1) | instskip(SKIP_1) | instid1(SALU_CYCLE_2)
	s_cvt_u32_f32 s34, s2
	s_wait_alu 0xfffe
	s_mul_u64 s[38:39], s[36:37], s[34:35]
	s_wait_alu 0xfffe
	s_mul_hi_u32 s41, s34, s39
	s_mul_i32 s40, s34, s39
	s_mul_hi_u32 s2, s34, s38
	s_mul_i32 s33, s35, s38
	s_wait_alu 0xfffe
	s_add_nc_u64 s[40:41], s[2:3], s[40:41]
	s_mul_hi_u32 s31, s35, s38
	s_mul_hi_u32 s42, s35, s39
	s_add_co_u32 s2, s40, s33
	s_wait_alu 0xfffe
	s_add_co_ci_u32 s2, s41, s31
	s_mul_i32 s38, s35, s39
	s_add_co_ci_u32 s39, s42, 0
	s_wait_alu 0xfffe
	s_add_nc_u64 s[38:39], s[2:3], s[38:39]
	s_wait_alu 0xfffe
	v_add_co_u32 v2, s2, s34, s38
	s_delay_alu instid0(VALU_DEP_1) | instskip(SKIP_1) | instid1(VALU_DEP_1)
	s_cmp_lg_u32 s2, 0
	s_add_co_ci_u32 s35, s35, s39
	v_readfirstlane_b32 s34, v2
	s_wait_alu 0xfffe
	s_delay_alu instid0(VALU_DEP_1)
	s_mul_u64 s[36:37], s[36:37], s[34:35]
	s_wait_alu 0xfffe
	s_mul_hi_u32 s39, s34, s37
	s_mul_i32 s38, s34, s37
	s_mul_hi_u32 s2, s34, s36
	s_mul_i32 s33, s35, s36
	s_wait_alu 0xfffe
	s_add_nc_u64 s[38:39], s[2:3], s[38:39]
	s_mul_hi_u32 s31, s35, s36
	s_mul_hi_u32 s34, s35, s37
	s_wait_alu 0xfffe
	s_add_co_u32 s2, s38, s33
	s_add_co_ci_u32 s2, s39, s31
	s_mul_i32 s36, s35, s37
	s_add_co_ci_u32 s37, s34, 0
	s_wait_alu 0xfffe
	s_add_nc_u64 s[36:37], s[2:3], s[36:37]
	s_wait_alu 0xfffe
	v_add_co_u32 v8, s2, v2, s36
	s_delay_alu instid0(VALU_DEP_1) | instskip(SKIP_1) | instid1(VALU_DEP_1)
	s_cmp_lg_u32 s2, 0
	s_add_co_ci_u32 s2, s35, s37
	v_mul_hi_u32 v12, v6, v8
	s_wait_alu 0xfffe
	v_mad_co_u64_u32 v[2:3], null, v6, s2, 0
	v_mad_co_u64_u32 v[8:9], null, v7, v8, 0
	;; [unrolled: 1-line block ×3, first 2 shown]
	s_delay_alu instid0(VALU_DEP_3) | instskip(SKIP_1) | instid1(VALU_DEP_4)
	v_add_co_u32 v2, vcc_lo, v12, v2
	s_wait_alu 0xfffd
	v_add_co_ci_u32_e32 v3, vcc_lo, 0, v3, vcc_lo
	s_delay_alu instid0(VALU_DEP_2) | instskip(SKIP_1) | instid1(VALU_DEP_2)
	v_add_co_u32 v2, vcc_lo, v2, v8
	s_wait_alu 0xfffd
	v_add_co_ci_u32_e32 v2, vcc_lo, v3, v9, vcc_lo
	s_wait_alu 0xfffd
	v_add_co_ci_u32_e32 v3, vcc_lo, 0, v11, vcc_lo
	s_delay_alu instid0(VALU_DEP_2) | instskip(SKIP_1) | instid1(VALU_DEP_2)
	v_add_co_u32 v8, vcc_lo, v2, v10
	s_wait_alu 0xfffd
	v_add_co_ci_u32_e32 v9, vcc_lo, 0, v3, vcc_lo
	s_delay_alu instid0(VALU_DEP_2) | instskip(SKIP_1) | instid1(VALU_DEP_3)
	v_mul_lo_u32 v10, s29, v8
	v_mad_co_u64_u32 v[2:3], null, s28, v8, 0
	v_mul_lo_u32 v11, s28, v9
	s_delay_alu instid0(VALU_DEP_2) | instskip(NEXT) | instid1(VALU_DEP_2)
	v_sub_co_u32 v2, vcc_lo, v6, v2
	v_add3_u32 v3, v3, v11, v10
	s_delay_alu instid0(VALU_DEP_1) | instskip(SKIP_1) | instid1(VALU_DEP_1)
	v_sub_nc_u32_e32 v10, v7, v3
	s_wait_alu 0xfffd
	v_subrev_co_ci_u32_e64 v10, s2, s29, v10, vcc_lo
	v_add_co_u32 v11, s2, v8, 2
	s_wait_alu 0xf1ff
	v_add_co_ci_u32_e64 v12, s2, 0, v9, s2
	v_sub_co_u32 v13, s2, v2, s28
	v_sub_co_ci_u32_e32 v3, vcc_lo, v7, v3, vcc_lo
	s_wait_alu 0xf1ff
	v_subrev_co_ci_u32_e64 v10, s2, 0, v10, s2
	s_delay_alu instid0(VALU_DEP_3) | instskip(NEXT) | instid1(VALU_DEP_3)
	v_cmp_le_u32_e32 vcc_lo, s28, v13
	v_cmp_eq_u32_e64 s2, s29, v3
	s_wait_alu 0xfffd
	v_cndmask_b32_e64 v13, 0, -1, vcc_lo
	v_cmp_le_u32_e32 vcc_lo, s29, v10
	s_wait_alu 0xfffd
	v_cndmask_b32_e64 v14, 0, -1, vcc_lo
	v_cmp_le_u32_e32 vcc_lo, s28, v2
	;; [unrolled: 3-line block ×3, first 2 shown]
	s_wait_alu 0xfffd
	v_cndmask_b32_e64 v15, 0, -1, vcc_lo
	v_cmp_eq_u32_e32 vcc_lo, s29, v10
	s_wait_alu 0xf1ff
	s_delay_alu instid0(VALU_DEP_2)
	v_cndmask_b32_e64 v2, v15, v2, s2
	s_wait_alu 0xfffd
	v_cndmask_b32_e32 v10, v14, v13, vcc_lo
	v_add_co_u32 v13, vcc_lo, v8, 1
	s_wait_alu 0xfffd
	v_add_co_ci_u32_e32 v14, vcc_lo, 0, v9, vcc_lo
	s_delay_alu instid0(VALU_DEP_3) | instskip(SKIP_1) | instid1(VALU_DEP_2)
	v_cmp_ne_u32_e32 vcc_lo, 0, v10
	s_wait_alu 0xfffd
	v_dual_cndmask_b32 v3, v14, v12 :: v_dual_cndmask_b32 v10, v13, v11
	v_cmp_ne_u32_e32 vcc_lo, 0, v2
	s_wait_alu 0xfffd
	s_delay_alu instid0(VALU_DEP_2)
	v_dual_cndmask_b32 v51, v9, v3 :: v_dual_cndmask_b32 v50, v8, v10
.LBB0_4:                                ;   in Loop: Header=BB0_2 Depth=1
	s_wait_alu 0xfffe
	s_and_not1_saveexec_b32 s2, s30
	s_cbranch_execz .LBB0_6
; %bb.5:                                ;   in Loop: Header=BB0_2 Depth=1
	v_cvt_f32_u32_e32 v2, s28
	s_sub_co_i32 s30, 0, s28
	v_mov_b32_e32 v51, v1
	s_delay_alu instid0(VALU_DEP_2) | instskip(NEXT) | instid1(TRANS32_DEP_1)
	v_rcp_iflag_f32_e32 v2, v2
	v_mul_f32_e32 v2, 0x4f7ffffe, v2
	s_delay_alu instid0(VALU_DEP_1) | instskip(SKIP_1) | instid1(VALU_DEP_1)
	v_cvt_u32_f32_e32 v2, v2
	s_wait_alu 0xfffe
	v_mul_lo_u32 v3, s30, v2
	s_delay_alu instid0(VALU_DEP_1) | instskip(NEXT) | instid1(VALU_DEP_1)
	v_mul_hi_u32 v3, v2, v3
	v_add_nc_u32_e32 v2, v2, v3
	s_delay_alu instid0(VALU_DEP_1) | instskip(NEXT) | instid1(VALU_DEP_1)
	v_mul_hi_u32 v2, v6, v2
	v_mul_lo_u32 v3, v2, s28
	v_add_nc_u32_e32 v8, 1, v2
	s_delay_alu instid0(VALU_DEP_2) | instskip(NEXT) | instid1(VALU_DEP_1)
	v_sub_nc_u32_e32 v3, v6, v3
	v_subrev_nc_u32_e32 v9, s28, v3
	v_cmp_le_u32_e32 vcc_lo, s28, v3
	s_wait_alu 0xfffd
	s_delay_alu instid0(VALU_DEP_2) | instskip(NEXT) | instid1(VALU_DEP_1)
	v_dual_cndmask_b32 v3, v3, v9 :: v_dual_cndmask_b32 v2, v2, v8
	v_cmp_le_u32_e32 vcc_lo, s28, v3
	s_delay_alu instid0(VALU_DEP_2) | instskip(SKIP_1) | instid1(VALU_DEP_1)
	v_add_nc_u32_e32 v8, 1, v2
	s_wait_alu 0xfffd
	v_cndmask_b32_e32 v50, v2, v8, vcc_lo
.LBB0_6:                                ;   in Loop: Header=BB0_2 Depth=1
	s_wait_alu 0xfffe
	s_or_b32 exec_lo, exec_lo, s2
	v_mul_lo_u32 v8, v51, s28
	s_delay_alu instid0(VALU_DEP_2)
	v_mul_lo_u32 v9, v50, s29
	s_load_b64 s[30:31], s[22:23], 0x0
	v_mad_co_u64_u32 v[2:3], null, v50, s28, 0
	s_load_b64 s[28:29], s[20:21], 0x0
	s_add_nc_u64 s[24:25], s[24:25], 1
	s_add_nc_u64 s[20:21], s[20:21], 8
	s_wait_alu 0xfffe
	v_cmp_ge_u64_e64 s2, s[24:25], s[10:11]
	s_add_nc_u64 s[22:23], s[22:23], 8
	s_add_nc_u64 s[26:27], s[26:27], 8
	v_add3_u32 v3, v3, v9, v8
	v_sub_co_u32 v2, vcc_lo, v6, v2
	s_wait_alu 0xfffd
	s_delay_alu instid0(VALU_DEP_2) | instskip(SKIP_2) | instid1(VALU_DEP_1)
	v_sub_co_ci_u32_e32 v3, vcc_lo, v7, v3, vcc_lo
	s_and_b32 vcc_lo, exec_lo, s2
	s_wait_kmcnt 0x0
	v_mul_lo_u32 v6, s30, v3
	v_mul_lo_u32 v7, s31, v2
	v_mad_co_u64_u32 v[4:5], null, s30, v2, v[4:5]
	v_mul_lo_u32 v3, s28, v3
	v_mul_lo_u32 v8, s29, v2
	v_mad_co_u64_u32 v[48:49], null, s28, v2, v[48:49]
	s_delay_alu instid0(VALU_DEP_4) | instskip(NEXT) | instid1(VALU_DEP_2)
	v_add3_u32 v5, v7, v5, v6
	v_add3_u32 v49, v8, v49, v3
	s_wait_alu 0xfffe
	s_cbranch_vccnz .LBB0_9
; %bb.7:                                ;   in Loop: Header=BB0_2 Depth=1
	v_dual_mov_b32 v6, v50 :: v_dual_mov_b32 v7, v51
	s_branch .LBB0_2
.LBB0_8:
	v_dual_mov_b32 v49, v5 :: v_dual_mov_b32 v48, v4
	s_delay_alu instid0(VALU_DEP_2)
	v_dual_mov_b32 v51, v7 :: v_dual_mov_b32 v50, v6
.LBB0_9:
	s_load_b64 s[0:1], s[0:1], 0x28
	v_mul_hi_u32 v1, 0x2302303, v0
	s_lshl_b64 s[10:11], s[10:11], 3
                                        ; implicit-def: $vgpr72
                                        ; implicit-def: $vgpr73
                                        ; implicit-def: $vgpr74
	s_wait_kmcnt 0x0
	v_cmp_gt_u64_e32 vcc_lo, s[0:1], v[50:51]
	v_cmp_le_u64_e64 s0, s[0:1], v[50:51]
	s_delay_alu instid0(VALU_DEP_1)
	s_and_saveexec_b32 s1, s0
	s_wait_alu 0xfffe
	s_xor_b32 s0, exec_lo, s1
; %bb.10:
	v_mul_u32_u24_e32 v1, 0x75, v1
                                        ; implicit-def: $vgpr4_vgpr5
	s_delay_alu instid0(VALU_DEP_1) | instskip(NEXT) | instid1(VALU_DEP_1)
	v_sub_nc_u32_e32 v72, v0, v1
                                        ; implicit-def: $vgpr1
                                        ; implicit-def: $vgpr0
	v_add_nc_u32_e32 v73, 0x75, v72
	v_add_nc_u32_e32 v74, 0xea, v72
; %bb.11:
	s_wait_alu 0xfffe
	s_or_saveexec_b32 s1, s0
	s_add_nc_u64 s[2:3], s[14:15], s[10:11]
                                        ; implicit-def: $vgpr10_vgpr11
                                        ; implicit-def: $vgpr30_vgpr31
                                        ; implicit-def: $vgpr26_vgpr27
                                        ; implicit-def: $vgpr6_vgpr7
                                        ; implicit-def: $vgpr34_vgpr35
                                        ; implicit-def: $vgpr22_vgpr23
                                        ; implicit-def: $vgpr2_vgpr3
                                        ; implicit-def: $vgpr18_vgpr19
                                        ; implicit-def: $vgpr14_vgpr15
	s_wait_alu 0xfffe
	s_xor_b32 exec_lo, exec_lo, s1
	s_cbranch_execz .LBB0_13
; %bb.12:
	s_add_nc_u64 s[10:11], s[12:13], s[10:11]
	v_mul_u32_u24_e32 v1, 0x75, v1
	s_load_b64 s[10:11], s[10:11], 0x0
	v_lshlrev_b64_e32 v[4:5], 4, v[4:5]
	s_delay_alu instid0(VALU_DEP_2) | instskip(NEXT) | instid1(VALU_DEP_1)
	v_sub_nc_u32_e32 v72, v0, v1
	v_add_nc_u32_e32 v14, 0x15f, v72
	v_mad_co_u64_u32 v[0:1], null, s18, v72, 0
	v_add_nc_u32_e32 v15, 0x2be, v72
	v_add_nc_u32_e32 v73, 0x75, v72
	s_delay_alu instid0(VALU_DEP_4) | instskip(SKIP_1) | instid1(VALU_DEP_4)
	v_mad_co_u64_u32 v[2:3], null, s18, v14, 0
	v_add_nc_u32_e32 v29, 0x3a8, v72
	v_mad_co_u64_u32 v[6:7], null, s18, v15, 0
	s_delay_alu instid0(VALU_DEP_4)
	v_mad_co_u64_u32 v[8:9], null, s18, v73, 0
	s_wait_kmcnt 0x0
	v_mul_lo_u32 v16, s11, v50
	v_mul_lo_u32 v17, s10, v51
	v_mad_co_u64_u32 v[10:11], null, s10, v50, 0
	v_mad_co_u64_u32 v[12:13], null, s19, v72, v[1:2]
	v_dual_mov_b32 v1, v3 :: v_dual_add_nc_u32 v20, 0x1d4, v72
	v_mov_b32_e32 v3, v7
	v_dual_mov_b32 v7, v9 :: v_dual_add_nc_u32 v22, 0x333, v72
	v_add3_u32 v11, v11, v17, v16
	s_delay_alu instid0(VALU_DEP_4) | instskip(SKIP_1) | instid1(VALU_DEP_3)
	v_mad_co_u64_u32 v[13:14], null, s19, v14, v[1:2]
	v_dual_mov_b32 v1, v12 :: v_dual_add_nc_u32 v74, 0xea, v72
	v_lshlrev_b64_e32 v[9:10], 4, v[10:11]
	v_mad_co_u64_u32 v[14:15], null, s19, v15, v[3:4]
	s_delay_alu instid0(VALU_DEP_3) | instskip(SKIP_1) | instid1(VALU_DEP_4)
	v_lshlrev_b64_e32 v[0:1], 4, v[0:1]
	v_dual_mov_b32 v3, v13 :: v_dual_add_nc_u32 v28, 0x249, v72
	v_add_co_u32 v9, s0, s4, v9
	s_wait_alu 0xf1ff
	v_add_co_ci_u32_e64 v10, s0, s5, v10, s0
	v_mad_co_u64_u32 v[11:12], null, s19, v73, v[7:8]
	s_delay_alu instid0(VALU_DEP_3)
	v_add_co_u32 v30, s0, v9, v4
	v_mov_b32_e32 v7, v14
	s_wait_alu 0xf1ff
	v_add_co_ci_u32_e64 v31, s0, v10, v5, s0
	v_lshlrev_b64_e32 v[2:3], 4, v[2:3]
	v_add_co_u32 v0, s0, v30, v0
	s_wait_alu 0xf1ff
	s_delay_alu instid0(VALU_DEP_3)
	v_add_co_ci_u32_e64 v1, s0, v31, v1, s0
	v_lshlrev_b64_e32 v[4:5], 4, v[6:7]
	v_mad_co_u64_u32 v[6:7], null, s18, v20, 0
	v_add_co_u32 v2, s0, v30, v2
	v_mov_b32_e32 v9, v11
	s_wait_alu 0xf1ff
	v_add_co_ci_u32_e64 v3, s0, v31, v3, s0
	s_clause 0x1
	global_load_b128 v[12:15], v[0:1], off
	global_load_b128 v[16:19], v[2:3], off
	v_add_co_u32 v0, s0, v30, v4
	v_lshlrev_b64_e32 v[3:4], 4, v[8:9]
	v_mov_b32_e32 v2, v7
	v_mad_co_u64_u32 v[10:11], null, s18, v74, 0
	s_wait_alu 0xf1ff
	v_add_co_ci_u32_e64 v1, s0, v31, v5, s0
	s_delay_alu instid0(VALU_DEP_3)
	v_mad_co_u64_u32 v[7:8], null, s19, v20, v[2:3]
	v_mad_co_u64_u32 v[8:9], null, s18, v22, 0
	v_add_co_u32 v20, s0, v30, v3
	s_wait_alu 0xf1ff
	v_add_co_ci_u32_e64 v21, s0, v31, v4, s0
	v_mad_co_u64_u32 v[4:5], null, s18, v28, 0
	s_delay_alu instid0(VALU_DEP_4) | instskip(SKIP_1) | instid1(VALU_DEP_2)
	v_dual_mov_b32 v2, v9 :: v_dual_mov_b32 v3, v11
	v_lshlrev_b64_e32 v[6:7], 4, v[6:7]
	v_mad_co_u64_u32 v[24:25], null, s19, v22, v[2:3]
	s_delay_alu instid0(VALU_DEP_4)
	v_mad_co_u64_u32 v[25:26], null, s19, v74, v[3:4]
	v_mad_co_u64_u32 v[26:27], null, s18, v29, 0
	s_clause 0x1
	global_load_b128 v[0:3], v[0:1], off
	global_load_b128 v[20:23], v[20:21], off
	v_mov_b32_e32 v9, v24
	v_mov_b32_e32 v11, v25
	v_mad_co_u64_u32 v[24:25], null, s19, v28, v[5:6]
	v_mov_b32_e32 v5, v27
	v_add_co_u32 v6, s0, v30, v6
	v_lshlrev_b64_e32 v[8:9], 4, v[8:9]
	v_lshlrev_b64_e32 v[10:11], 4, v[10:11]
	s_wait_alu 0xf1ff
	v_add_co_ci_u32_e64 v7, s0, v31, v7, s0
	v_mad_co_u64_u32 v[27:28], null, s19, v29, v[5:6]
	v_mov_b32_e32 v5, v24
	v_add_co_u32 v8, s0, v30, v8
	s_wait_alu 0xf1ff
	v_add_co_ci_u32_e64 v9, s0, v31, v9, s0
	s_delay_alu instid0(VALU_DEP_3) | instskip(SKIP_4) | instid1(VALU_DEP_4)
	v_lshlrev_b64_e32 v[4:5], 4, v[4:5]
	v_add_co_u32 v10, s0, v30, v10
	v_lshlrev_b64_e32 v[24:25], 4, v[26:27]
	s_wait_alu 0xf1ff
	v_add_co_ci_u32_e64 v11, s0, v31, v11, s0
	v_add_co_u32 v28, s0, v30, v4
	s_wait_alu 0xf1ff
	v_add_co_ci_u32_e64 v29, s0, v31, v5, s0
	v_add_co_u32 v36, s0, v30, v24
	s_wait_alu 0xf1ff
	v_add_co_ci_u32_e64 v37, s0, v31, v25, s0
	s_clause 0x4
	global_load_b128 v[32:35], v[6:7], off
	global_load_b128 v[4:7], v[8:9], off
	;; [unrolled: 1-line block ×5, first 2 shown]
.LBB0_13:
	s_or_b32 exec_lo, exec_lo, s1
	s_wait_loadcnt 0x6
	v_add_f64_e32 v[36:37], v[0:1], v[16:17]
	v_add_f64_e32 v[42:43], v[2:3], v[18:19]
	s_wait_loadcnt 0x3
	v_add_f64_e32 v[38:39], v[4:5], v[32:33]
	v_add_f64_e32 v[44:45], v[6:7], v[34:35]
	;; [unrolled: 3-line block ×3, first 2 shown]
	v_add_f64_e32 v[52:53], v[16:17], v[12:13]
	v_add_f64_e64 v[54:55], v[18:19], -v[2:3]
	v_add_f64_e32 v[18:19], v[18:19], v[14:15]
	v_add_f64_e64 v[16:17], v[16:17], -v[0:1]
	;; [unrolled: 2-line block ×4, first 2 shown]
	v_and_b32_e32 v58, 0xff, v72
	v_and_b32_e32 v76, 0xffff, v74
	v_mad_u32_u24 v61, v72, 24, 0
	s_mov_b32 s4, 0xe8584caa
	s_mov_b32 s5, 0xbfebb67a
	;; [unrolled: 1-line block ×3, first 2 shown]
	s_wait_alu 0xfffe
	s_mov_b32 s10, s4
	v_mad_i32_i24 v77, v73, 24, 0
	v_lshlrev_b32_e32 v79, 4, v73
	v_mad_i32_i24 v78, v74, 24, 0
	v_lshlrev_b32_e32 v80, 4, v74
	s_load_b64 s[2:3], s[2:3], 0x0
	v_cmp_gt_u32_e64 s0, 0x51, v72
	v_sub_nc_u32_e32 v93, v77, v79
	s_delay_alu instid0(VALU_DEP_3)
	v_sub_nc_u32_e32 v94, v78, v80
	v_fma_f64 v[12:13], v[36:37], -0.5, v[12:13]
	v_fma_f64 v[14:15], v[42:43], -0.5, v[14:15]
	v_add_f64_e64 v[36:37], v[34:35], -v[6:7]
	v_fma_f64 v[20:21], v[38:39], -0.5, v[20:21]
	v_add_f64_e32 v[34:35], v[34:35], v[22:23]
	v_fma_f64 v[22:23], v[44:45], -0.5, v[22:23]
	v_add_f64_e64 v[38:39], v[30:31], -v[10:11]
	v_fma_f64 v[24:25], v[40:41], -0.5, v[24:25]
	v_add_f64_e32 v[30:31], v[30:31], v[26:27]
	v_fma_f64 v[26:27], v[46:47], -0.5, v[26:27]
	v_and_b32_e32 v40, 0xff, v73
	v_lshlrev_b32_e32 v44, 4, v72
	v_mul_lo_u16 v45, 0xab, v58
	v_mul_u32_u24_e32 v47, 0xaaab, v76
	v_add_f64_e32 v[0:1], v[0:1], v[52:53]
	v_mul_lo_u16 v46, 0xab, v40
	v_sub_nc_u32_e32 v75, v61, v44
	v_lshrrev_b16 v71, 9, v45
	v_lshrrev_b32_e32 v92, 17, v47
	v_add_f64_e32 v[44:45], v[2:3], v[18:19]
	v_lshrrev_b16 v91, 9, v46
	v_add_f64_e32 v[4:5], v[4:5], v[56:57]
	v_add_f64_e32 v[8:9], v[8:9], v[59:60]
	v_mul_lo_u16 v53, v92, 3
	v_add_nc_u32_e32 v18, 0x800, v75
	v_mul_lo_u16 v52, v91, 3
	v_add_nc_u32_e32 v19, 0x1000, v75
	s_delay_alu instid0(VALU_DEP_4) | instskip(NEXT) | instid1(VALU_DEP_3)
	v_sub_nc_u16 v3, v74, v53
	v_sub_nc_u16 v2, v73, v52
	s_delay_alu instid0(VALU_DEP_2) | instskip(NEXT) | instid1(VALU_DEP_2)
	v_and_b32_e32 v97, 0xffff, v3
	v_and_b32_e32 v96, 0xff, v2
	s_delay_alu instid0(VALU_DEP_2)
	v_lshlrev_b32_e32 v52, 5, v97
	v_fma_f64 v[40:41], v[54:55], s[4:5], v[12:13]
	v_fma_f64 v[46:47], v[16:17], s[10:11], v[14:15]
	v_fma_f64 v[12:13], v[54:55], s[10:11], v[12:13]
	v_fma_f64 v[14:15], v[16:17], s[4:5], v[14:15]
	v_fma_f64 v[42:43], v[36:37], s[4:5], v[20:21]
	v_add_f64_e32 v[34:35], v[6:7], v[34:35]
	v_fma_f64 v[16:17], v[32:33], s[10:11], v[22:23]
	v_fma_f64 v[20:21], v[36:37], s[10:11], v[20:21]
	;; [unrolled: 1-line block ×4, first 2 shown]
	v_add_f64_e32 v[30:31], v[10:11], v[30:31]
	v_fma_f64 v[32:33], v[28:29], s[10:11], v[26:27]
	v_fma_f64 v[38:39], v[38:39], s[10:11], v[24:25]
	;; [unrolled: 1-line block ×3, first 2 shown]
	v_mul_lo_u16 v24, v71, 3
	v_lshlrev_b32_e32 v29, 5, v96
	ds_store_2addr_b64 v61, v[0:1], v[40:41] offset1:1
	ds_store_b64 v61, v[12:13] offset:16
	ds_store_2addr_b64 v77, v[4:5], v[42:43] offset1:1
	ds_store_b64 v77, v[20:21] offset:16
	ds_store_2addr_b64 v78, v[8:9], v[36:37] offset1:1
	ds_store_b64 v78, v[38:39] offset:16
	v_sub_nc_u16 v24, v72, v24
	global_wb scope:SCOPE_SE
	s_wait_dscnt 0x0
	s_wait_kmcnt 0x0
	s_barrier_signal -1
	s_barrier_wait -1
	global_inv scope:SCOPE_SE
	v_and_b32_e32 v95, 0xff, v24
	v_add_nc_u32_e32 v24, 0x1800, v75
	ds_load_2addr_b64 v[0:3], v18 offset0:95 offset1:212
	ds_load_2addr_b64 v[4:7], v19 offset0:73 offset1:190
	;; [unrolled: 1-line block ×3, first 2 shown]
	ds_load_b64 v[56:57], v75
	ds_load_b64 v[67:68], v93
	ds_load_b64 v[69:70], v94
	v_lshlrev_b32_e32 v27, 5, v95
	global_wb scope:SCOPE_SE
	s_wait_dscnt 0x0
	s_barrier_signal -1
	s_barrier_wait -1
	global_inv scope:SCOPE_SE
	ds_store_2addr_b64 v61, v[44:45], v[46:47] offset1:1
	ds_store_b64 v61, v[14:15] offset:16
	ds_store_2addr_b64 v77, v[34:35], v[16:17] offset1:1
	ds_store_b64 v77, v[22:23] offset:16
	;; [unrolled: 2-line block ×3, first 2 shown]
	global_wb scope:SCOPE_SE
	s_wait_dscnt 0x0
	s_barrier_signal -1
	s_barrier_wait -1
	global_inv scope:SCOPE_SE
	s_clause 0x5
	global_load_b128 v[12:15], v27, s[8:9]
	global_load_b128 v[20:23], v27, s[8:9] offset:16
	global_load_b128 v[25:28], v29, s[8:9]
	global_load_b128 v[34:37], v29, s[8:9] offset:16
	;; [unrolled: 2-line block ×3, first 2 shown]
	ds_load_2addr_b64 v[40:43], v18 offset0:95 offset1:212
	ds_load_2addr_b64 v[59:62], v19 offset0:73 offset1:190
	;; [unrolled: 1-line block ×3, first 2 shown]
	s_wait_loadcnt_dscnt 0x502
	v_mul_f64_e32 v[16:17], v[40:41], v[14:15]
	s_wait_loadcnt_dscnt 0x401
	v_mul_f64_e32 v[29:30], v[61:62], v[22:23]
	s_wait_loadcnt 0x3
	v_mul_f64_e32 v[31:32], v[42:43], v[27:28]
	s_wait_loadcnt_dscnt 0x200
	v_mul_f64_e32 v[81:82], v[63:64], v[36:37]
	s_wait_loadcnt 0x1
	v_mul_f64_e32 v[83:84], v[59:60], v[46:47]
	s_wait_loadcnt 0x0
	v_mul_f64_e32 v[85:86], v[65:66], v[54:55]
	v_mul_f64_e32 v[14:15], v[0:1], v[14:15]
	v_mul_f64_e32 v[22:23], v[6:7], v[22:23]
	v_mul_f64_e32 v[87:88], v[2:3], v[27:28]
	v_mul_f64_e32 v[89:90], v[8:9], v[36:37]
	v_mul_f64_e32 v[46:47], v[4:5], v[46:47]
	v_mul_f64_e32 v[54:55], v[10:11], v[54:55]
	v_mul_u32_u24_e32 v27, 0x48, v92
	v_fma_f64 v[36:37], v[0:1], v[12:13], v[16:17]
	v_fma_f64 v[38:39], v[6:7], v[20:21], v[29:30]
	;; [unrolled: 1-line block ×6, first 2 shown]
	v_fma_f64 v[40:41], v[40:41], v[12:13], -v[14:15]
	v_fma_f64 v[2:3], v[61:62], v[20:21], -v[22:23]
	v_fma_f64 v[42:43], v[42:43], v[25:26], -v[87:88]
	v_fma_f64 v[34:35], v[63:64], v[34:35], -v[89:90]
	v_fma_f64 v[46:47], v[59:60], v[44:45], -v[46:47]
	v_fma_f64 v[44:45], v[65:66], v[52:53], -v[54:55]
	v_lshlrev_b32_e32 v59, 3, v95
	v_lshlrev_b32_e32 v60, 3, v96
	;; [unrolled: 1-line block ×3, first 2 shown]
	v_add_f64_e32 v[10:11], v[56:57], v[36:37]
	v_add_f64_e32 v[4:5], v[36:37], v[38:39]
	;; [unrolled: 1-line block ×6, first 2 shown]
	v_add_f64_e64 v[12:13], v[40:41], -v[2:3]
	v_add_f64_e64 v[22:23], v[42:43], -v[34:35]
	;; [unrolled: 1-line block ×3, first 2 shown]
	v_fma_f64 v[20:21], v[4:5], -0.5, v[56:57]
	v_add_f64_e32 v[4:5], v[10:11], v[38:39]
	v_fma_f64 v[25:26], v[6:7], -0.5, v[67:68]
	v_add_f64_e32 v[14:15], v[14:15], v[32:33]
	;; [unrolled: 2-line block ×3, first 2 shown]
                                        ; implicit-def: $vgpr68_vgpr69
	v_fma_f64 v[6:7], v[12:13], s[4:5], v[20:21]
	v_fma_f64 v[12:13], v[12:13], s[10:11], v[20:21]
	;; [unrolled: 1-line block ×6, first 2 shown]
	ds_load_b64 v[56:57], v75
	ds_load_b64 v[54:55], v93
	;; [unrolled: 1-line block ×3, first 2 shown]
	v_and_b32_e32 v25, 0xffff, v71
	v_and_b32_e32 v26, 0xffff, v91
	global_wb scope:SCOPE_SE
	s_wait_dscnt 0x0
	s_barrier_signal -1
	s_barrier_wait -1
	v_mul_u32_u24_e32 v25, 0x48, v25
	v_mul_u32_u24_e32 v26, 0x48, v26
	global_inv scope:SCOPE_SE
	v_add3_u32 v61, 0, v25, v59
	v_add3_u32 v60, 0, v26, v60
	;; [unrolled: 1-line block ×3, first 2 shown]
	ds_store_2addr_b64 v61, v[4:5], v[6:7] offset1:3
	ds_store_b64 v61, v[12:13] offset:48
	ds_store_2addr_b64 v60, v[14:15], v[20:21] offset1:3
	ds_store_b64 v60, v[22:23] offset:48
	;; [unrolled: 2-line block ×3, first 2 shown]
	global_wb scope:SCOPE_SE
	s_wait_dscnt 0x0
	s_barrier_signal -1
	s_barrier_wait -1
	global_inv scope:SCOPE_SE
                                        ; implicit-def: $vgpr26_vgpr27
	s_and_saveexec_b32 s1, s0
	s_cbranch_execz .LBB0_15
; %bb.14:
	v_add_nc_u32_e32 v8, 0xc00, v75
	ds_load_2addr_b64 v[4:7], v75 offset1:81
	ds_load_2addr_b64 v[12:15], v75 offset0:162 offset1:243
	ds_load_2addr_b64 v[20:23], v18 offset0:68 offset1:149
	;; [unrolled: 1-line block ×5, first 2 shown]
	ds_load_b64 v[68:69], v75 offset:7776
.LBB0_15:
	s_wait_alu 0xfffe
	s_or_b32 exec_lo, exec_lo, s1
	v_add_f64_e32 v[62:63], v[40:41], v[2:3]
	v_add_f64_e32 v[64:65], v[42:43], v[34:35]
	v_add_f64_e32 v[66:67], v[46:47], v[44:45]
	v_add_f64_e32 v[40:41], v[56:57], v[40:41]
	v_add_f64_e64 v[36:37], v[36:37], -v[38:39]
	v_add_f64_e32 v[38:39], v[54:55], v[42:43]
	v_add_f64_e32 v[42:43], v[52:53], v[46:47]
	v_add_f64_e64 v[32:33], v[28:29], -v[32:33]
	global_wb scope:SCOPE_SE
	s_wait_dscnt 0x0
	s_barrier_signal -1
	s_barrier_wait -1
	global_inv scope:SCOPE_SE
                                        ; implicit-def: $vgpr70_vgpr71
	v_fma_f64 v[46:47], v[62:63], -0.5, v[56:57]
	v_fma_f64 v[54:55], v[64:65], -0.5, v[54:55]
	v_add_f64_e64 v[56:57], v[0:1], -v[30:31]
	v_fma_f64 v[52:53], v[66:67], -0.5, v[52:53]
	v_add_f64_e32 v[0:1], v[40:41], v[2:3]
	v_add_f64_e32 v[38:39], v[38:39], v[34:35]
	v_add_f64_e32 v[28:29], v[42:43], v[44:45]
	v_fma_f64 v[2:3], v[36:37], s[10:11], v[46:47]
	v_fma_f64 v[36:37], v[36:37], s[4:5], v[46:47]
	;; [unrolled: 1-line block ×6, first 2 shown]
                                        ; implicit-def: $vgpr46_vgpr47
	ds_store_2addr_b64 v61, v[0:1], v[2:3] offset1:3
	ds_store_b64 v61, v[36:37] offset:48
	ds_store_2addr_b64 v60, v[38:39], v[40:41] offset1:3
	ds_store_b64 v60, v[42:43] offset:48
	ds_store_2addr_b64 v59, v[28:29], v[30:31] offset1:3
	ds_store_b64 v59, v[32:33] offset:48
	global_wb scope:SCOPE_SE
	s_wait_dscnt 0x0
	s_barrier_signal -1
	s_barrier_wait -1
	global_inv scope:SCOPE_SE
	s_and_saveexec_b32 s1, s0
	s_cbranch_execz .LBB0_17
; %bb.16:
	v_add_nc_u32_e32 v28, 0x800, v75
	v_add_nc_u32_e32 v29, 0xc00, v75
	;; [unrolled: 1-line block ×4, first 2 shown]
	ds_load_2addr_b64 v[0:3], v75 offset1:81
	ds_load_2addr_b64 v[36:39], v75 offset0:162 offset1:243
	ds_load_2addr_b64 v[40:43], v28 offset0:68 offset1:149
	;; [unrolled: 1-line block ×5, first 2 shown]
	ds_load_b64 v[70:71], v75 offset:7776
.LBB0_17:
	s_wait_alu 0xfffe
	s_or_b32 exec_lo, exec_lo, s1
	v_mul_lo_u16 v52, v58, 57
	s_delay_alu instid0(VALU_DEP_1) | instskip(NEXT) | instid1(VALU_DEP_1)
	v_lshrrev_b16 v141, 9, v52
	v_mul_lo_u16 v52, v141, 9
	s_delay_alu instid0(VALU_DEP_1) | instskip(NEXT) | instid1(VALU_DEP_1)
	v_sub_nc_u16 v52, v72, v52
	v_and_b32_e32 v142, 0xff, v52
	s_delay_alu instid0(VALU_DEP_1) | instskip(NEXT) | instid1(VALU_DEP_1)
	v_mul_u32_u24_e32 v52, 12, v142
	v_lshlrev_b32_e32 v60, 4, v52
	s_clause 0xb
	global_load_b128 v[52:55], v60, s[8:9] offset:112
	global_load_b128 v[56:59], v60, s[8:9] offset:128
	;; [unrolled: 1-line block ×12, first 2 shown]
	global_wb scope:SCOPE_SE
	s_wait_loadcnt_dscnt 0x0
	s_barrier_signal -1
	s_barrier_wait -1
	global_inv scope:SCOPE_SE
	v_mul_f64_e32 v[60:61], v[36:37], v[54:55]
	v_mul_f64_e32 v[54:55], v[12:13], v[54:55]
	;; [unrolled: 1-line block ×24, first 2 shown]
	v_fma_f64 v[60:61], v[12:13], v[52:53], v[60:61]
	v_fma_f64 v[64:65], v[36:37], v[52:53], -v[54:55]
	v_fma_f64 v[58:59], v[14:15], v[56:57], v[62:63]
	v_fma_f64 v[62:63], v[38:39], v[56:57], -v[66:67]
	;; [unrolled: 2-line block ×12, first 2 shown]
	v_sub_nc_u32_e32 v7, 0, v79
	v_sub_nc_u32_e32 v6, 0, v80
	v_and_b32_e32 v79, 0xffff, v141
	v_lshlrev_b32_e32 v80, 3, v142
	s_and_saveexec_b32 s1, s0
	s_cbranch_execz .LBB0_19
; %bb.18:
	v_add_f64_e32 v[2:3], v[4:5], v[34:35]
	v_add_f64_e64 v[10:11], v[66:67], -v[14:15]
	v_add_f64_e64 v[8:9], v[64:65], -v[16:17]
	;; [unrolled: 1-line block ×6, first 2 shown]
	s_mov_b32 s28, 0x66966769
	s_mov_b32 s26, 0x2ef20147
	;; [unrolled: 1-line block ×12, first 2 shown]
	s_wait_alu 0xfffe
	s_mov_b32 s34, s24
	s_mov_b32 s36, s28
	v_add_f64_e32 v[81:82], v[34:35], v[44:45]
	s_mov_b32 s5, 0x3fddbe06
	s_mov_b32 s4, 0x4267c47c
	;; [unrolled: 1-line block ×12, first 2 shown]
	v_add_f64_e32 v[103:104], v[60:61], v[26:27]
	s_mov_b32 s20, 0xe00740e9
	s_mov_b32 s21, 0x3fec55a7
	;; [unrolled: 1-line block ×3, first 2 shown]
	v_add_f64_e32 v[2:3], v[2:3], v[60:61]
	v_mul_f64_e32 v[85:86], s[30:31], v[10:11]
	v_mul_f64_e32 v[89:90], s[22:23], v[10:11]
	;; [unrolled: 1-line block ×3, first 2 shown]
	s_wait_alu 0xfffe
	v_mul_f64_e32 v[97:98], s[36:37], v[10:11]
	v_mul_f64_e32 v[99:100], s[34:35], v[10:11]
	;; [unrolled: 1-line block ×7, first 2 shown]
	s_mov_b32 s5, 0xbfddbe06
	v_mul_f64_e32 v[105:106], s[28:29], v[8:9]
	s_wait_alu 0xfffe
	v_mul_f64_e32 v[10:11], s[4:5], v[10:11]
	s_mov_b32 s4, 0x1ea71119
	s_mov_b32 s5, 0x3fe22d96
	v_mul_f64_e32 v[107:108], s[38:39], v[8:9]
	v_mul_f64_e32 v[109:110], s[30:31], v[8:9]
	;; [unrolled: 1-line block ×4, first 2 shown]
	s_mov_b32 s40, s26
	v_mul_f64_e32 v[125:126], s[22:23], v[46:47]
	v_mul_f64_e32 v[127:128], s[34:35], v[46:47]
	;; [unrolled: 1-line block ×5, first 2 shown]
	s_mov_b32 s41, 0x3fcea1e5
	s_mov_b32 s40, s30
	v_mul_f64_e32 v[147:148], s[36:37], v[68:69]
	s_wait_alu 0xfffe
	v_mul_f64_e32 v[145:146], s[40:41], v[68:69]
	v_mul_f64_e32 v[149:150], s[38:39], v[68:69]
	v_add_f64_e32 v[2:3], v[2:3], v[58:59]
	v_fma_f64 v[113:114], v[81:82], s[14:15], -v[85:86]
	v_fma_f64 v[85:86], v[81:82], s[14:15], v[85:86]
	v_fma_f64 v[115:116], v[81:82], s[18:19], -v[89:90]
	v_fma_f64 v[89:90], v[81:82], s[18:19], v[89:90]
	;; [unrolled: 2-line block ×3, first 2 shown]
	v_fma_f64 v[121:122], v[81:82], s[4:5], v[99:100]
	v_fma_f64 v[93:94], v[81:82], s[10:11], v[93:94]
	v_fma_f64 v[97:98], v[81:82], s[12:13], -v[97:98]
	v_fma_f64 v[99:100], v[81:82], s[4:5], -v[99:100]
	;; [unrolled: 1-line block ×3, first 2 shown]
	v_fma_f64 v[83:84], v[103:104], s[20:21], v[83:84]
	v_fma_f64 v[123:124], v[81:82], s[20:21], v[10:11]
	v_fma_f64 v[10:11], v[81:82], s[20:21], -v[10:11]
	v_add_f64_e32 v[81:82], v[58:59], v[24:25]
	v_fma_f64 v[135:136], v[103:104], s[12:13], -v[105:106]
	v_fma_f64 v[105:106], v[103:104], s[12:13], v[105:106]
	v_fma_f64 v[137:138], v[103:104], s[18:19], -v[107:108]
	v_fma_f64 v[107:108], v[103:104], s[18:19], v[107:108]
	;; [unrolled: 2-line block ×5, first 2 shown]
	v_add_f64_e32 v[2:3], v[2:3], v[52:53]
	v_add_f64_e32 v[103:104], v[4:5], v[113:114]
	;; [unrolled: 1-line block ×14, first 2 shown]
	v_mul_f64_e32 v[123:124], s[24:25], v[68:69]
	v_mul_f64_e32 v[68:69], s[26:27], v[68:69]
	v_fma_f64 v[151:152], v[81:82], s[18:19], -v[125:126]
	v_fma_f64 v[125:126], v[81:82], s[18:19], v[125:126]
	v_fma_f64 v[153:154], v[81:82], s[4:5], -v[127:128]
	v_fma_f64 v[127:128], v[81:82], s[4:5], v[127:128]
	;; [unrolled: 2-line block ×6, first 2 shown]
	v_add_f64_e32 v[2:3], v[2:3], v[38:39]
	v_add_f64_e32 v[81:82], v[133:134], v[103:104]
	;; [unrolled: 1-line block ×12, first 2 shown]
	v_mul_f64_e32 v[111:112], s[26:27], v[12:13]
	v_add_f64_e32 v[8:9], v[8:9], v[121:122]
	v_add_f64_e32 v[4:5], v[143:144], v[4:5]
	v_mul_f64_e32 v[113:114], s[40:41], v[12:13]
	v_mul_f64_e32 v[115:116], s[34:35], v[12:13]
	;; [unrolled: 1-line block ×3, first 2 shown]
	v_fma_f64 v[119:120], v[10:11], s[4:5], -v[123:124]
	v_fma_f64 v[121:122], v[10:11], s[4:5], v[123:124]
	v_fma_f64 v[123:124], v[10:11], s[14:15], -v[145:146]
	v_fma_f64 v[133:134], v[10:11], s[14:15], v[145:146]
	;; [unrolled: 2-line block ×6, first 2 shown]
	v_mul_f64_e32 v[12:13], s[22:23], v[12:13]
	v_add_f64_e32 v[2:3], v[2:3], v[20:21]
	v_add_f64_e32 v[68:69], v[151:152], v[81:82]
	;; [unrolled: 1-line block ×11, first 2 shown]
	v_mul_f64_e32 v[99:100], s[28:29], v[70:71]
	v_mul_f64_e32 v[109:110], s[26:27], v[70:71]
	v_add_f64_e32 v[8:9], v[46:47], v[8:9]
	v_add_f64_e32 v[4:5], v[161:162], v[4:5]
	;; [unrolled: 1-line block ×3, first 2 shown]
	v_mul_f64_e32 v[125:126], s[24:25], v[70:71]
	v_mul_f64_e32 v[127:128], s[22:23], v[70:71]
	;; [unrolled: 1-line block ×3, first 2 shown]
	v_fma_f64 v[129:130], v[107:108], s[10:11], -v[111:112]
	v_fma_f64 v[111:112], v[107:108], s[10:11], v[111:112]
	v_fma_f64 v[131:132], v[107:108], s[20:21], -v[87:88]
	v_fma_f64 v[87:88], v[107:108], s[20:21], v[87:88]
	v_fma_f64 v[147:148], v[107:108], s[14:15], -v[113:114]
	v_fma_f64 v[149:150], v[107:108], s[4:5], -v[115:116]
	v_fma_f64 v[115:116], v[107:108], s[4:5], v[115:116]
	v_fma_f64 v[151:152], v[107:108], s[12:13], -v[117:118]
	v_fma_f64 v[117:118], v[107:108], s[12:13], v[117:118]
	v_fma_f64 v[113:114], v[107:108], s[14:15], v[113:114]
	v_fma_f64 v[153:154], v[107:108], s[18:19], -v[12:13]
	v_fma_f64 v[12:13], v[107:108], s[18:19], v[12:13]
	v_add_f64_e32 v[2:3], v[2:3], v[22:23]
	v_add_f64_e32 v[68:69], v[119:120], v[68:69]
	;; [unrolled: 1-line block ×13, first 2 shown]
	v_fma_f64 v[10:11], v[46:47], s[12:13], -v[99:100]
	v_fma_f64 v[99:100], v[46:47], s[12:13], v[99:100]
	v_fma_f64 v[105:106], v[46:47], s[10:11], -v[109:110]
	v_fma_f64 v[107:108], v[46:47], s[10:11], v[109:110]
	;; [unrolled: 2-line block ×6, first 2 shown]
	v_add_f64_e32 v[2:3], v[2:3], v[40:41]
	v_add_f64_e32 v[68:69], v[129:130], v[68:69]
	;; [unrolled: 1-line block ×26, first 2 shown]
	v_mul_u32_u24_e32 v46, 0x3a8, v79
	s_delay_alu instid0(VALU_DEP_1) | instskip(SKIP_1) | instid1(VALU_DEP_1)
	v_add3_u32 v46, 0, v46, v80
	v_add_f64_e32 v[2:3], v[2:3], v[24:25]
	v_add_f64_e32 v[2:3], v[2:3], v[26:27]
	s_delay_alu instid0(VALU_DEP_1)
	v_add_f64_e32 v[2:3], v[2:3], v[44:45]
	ds_store_2addr_b64 v46, v[85:86], v[83:84] offset0:18 offset1:27
	ds_store_2addr_b64 v46, v[87:88], v[70:71] offset0:36 offset1:45
	;; [unrolled: 1-line block ×5, first 2 shown]
	ds_store_2addr_b64 v46, v[2:3], v[8:9] offset1:9
	ds_store_b64 v46, v[4:5] offset:864
.LBB0_19:
	s_wait_alu 0xfffe
	s_or_b32 exec_lo, exec_lo, s1
	v_add_nc_u32_e32 v81, 0x800, v75
	v_add_nc_u32_e32 v82, 0x1000, v75
	;; [unrolled: 1-line block ×5, first 2 shown]
	global_wb scope:SCOPE_SE
	s_wait_dscnt 0x0
	s_barrier_signal -1
	s_barrier_wait -1
	global_inv scope:SCOPE_SE
	ds_load_2addr_b64 v[2:5], v81 offset0:95 offset1:212
	ds_load_2addr_b64 v[6:9], v82 offset0:73 offset1:190
	;; [unrolled: 1-line block ×3, first 2 shown]
	ds_load_b64 v[70:71], v75
	ds_load_b64 v[68:69], v77
	;; [unrolled: 1-line block ×3, first 2 shown]
	global_wb scope:SCOPE_SE
	s_wait_dscnt 0x0
	s_barrier_signal -1
	s_barrier_wait -1
	global_inv scope:SCOPE_SE
	s_and_saveexec_b32 s33, s0
	s_cbranch_execz .LBB0_21
; %bb.20:
	v_add_f64_e32 v[84:85], v[0:1], v[66:67]
	v_add_f64_e32 v[66:67], v[66:67], v[14:15]
	s_mov_b32 s0, 0xe00740e9
	s_mov_b32 s34, 0x1ea71119
	s_mov_b32 s28, 0xebaa3ed8
	s_mov_b32 s1, 0x3fec55a7
	s_mov_b32 s35, 0x3fe22d96
	s_mov_b32 s29, 0x3fbedb7d
	s_mov_b32 s30, 0xb2365da1
	s_mov_b32 s36, 0xd0032e0c
	s_mov_b32 s31, 0xbfd6b1d8
	s_mov_b32 s37, 0xbfe7f3cc
	s_mov_b32 s44, 0x93053d00
	v_add_f64_e64 v[34:35], v[34:35], -v[44:45]
	v_add_f64_e32 v[44:45], v[64:65], v[16:17]
	s_mov_b32 s45, 0xbfef11f4
	s_mov_b32 s4, 0x4267c47c
	;; [unrolled: 1-line block ×10, first 2 shown]
	s_wait_alu 0xfffe
	s_mov_b32 s20, s14
	s_mov_b32 s23, 0x3fedeba7
	s_mov_b32 s25, 0xbfedeba7
	s_mov_b32 s27, 0x3fe5384d
	s_mov_b32 s40, 0x4bc48dbf
	s_mov_b32 s24, s22
	s_mov_b32 s41, 0x3fcea1e5
	s_mov_b32 s43, 0xbfcea1e5
	v_add_f64_e64 v[26:27], v[60:61], -v[26:27]
	s_wait_alu 0xfffe
	s_mov_b32 s42, s40
	s_mov_b32 s39, 0xbfe5384d
	;; [unrolled: 1-line block ×4, first 2 shown]
	v_add_f64_e32 v[84:85], v[84:85], v[64:65]
	v_mul_f64_e32 v[64:65], s[0:1], v[66:67]
	v_mul_f64_e32 v[86:87], s[34:35], v[66:67]
	;; [unrolled: 1-line block ×6, first 2 shown]
	s_mov_b32 s18, s12
	s_mov_b32 s11, 0xbfddbe06
	;; [unrolled: 1-line block ×3, first 2 shown]
	v_add_f64_e64 v[24:25], v[58:59], -v[24:25]
	v_add_f64_e64 v[38:39], v[38:39], -v[40:41]
	;; [unrolled: 1-line block ×3, first 2 shown]
	v_mul_f64_e32 v[60:61], s[34:35], v[44:45]
	v_mul_f64_e32 v[94:95], s[30:31], v[44:45]
	;; [unrolled: 1-line block ×6, first 2 shown]
	v_add_f64_e32 v[84:85], v[84:85], v[62:63]
	v_add_f64_e32 v[62:63], v[62:63], v[18:19]
	v_fma_f64 v[102:103], v[34:35], s[4:5], v[64:65]
	v_fma_f64 v[104:105], v[34:35], s[14:15], v[86:87]
	;; [unrolled: 1-line block ×9, first 2 shown]
	s_wait_alu 0xfffe
	v_fma_f64 v[92:93], v[34:35], s[38:39], v[92:93]
	v_fma_f64 v[88:89], v[34:35], s[18:19], v[88:89]
	;; [unrolled: 1-line block ×15, first 2 shown]
	v_add_f64_e32 v[84:85], v[84:85], v[56:57]
	v_add_f64_e32 v[56:57], v[56:57], v[28:29]
	v_mul_f64_e32 v[58:59], s[28:29], v[62:63]
	v_mul_f64_e32 v[64:65], s[44:45], v[62:63]
	;; [unrolled: 1-line block ×6, first 2 shown]
	v_add_f64_e32 v[44:45], v[0:1], v[102:103]
	v_add_f64_e32 v[102:103], v[0:1], v[104:105]
	;; [unrolled: 1-line block ×12, first 2 shown]
	v_add_f64_e64 v[34:35], v[52:53], -v[54:55]
	v_add_f64_e32 v[84:85], v[84:85], v[42:43]
	v_add_f64_e32 v[42:43], v[42:43], v[32:33]
	v_mul_f64_e32 v[52:53], s[30:31], v[56:57]
	v_mul_f64_e32 v[54:55], s[36:37], v[56:57]
	;; [unrolled: 1-line block ×6, first 2 shown]
	v_fma_f64 v[136:137], v[24:25], s[12:13], v[58:59]
	v_fma_f64 v[58:59], v[24:25], s[18:19], v[58:59]
	;; [unrolled: 1-line block ×12, first 2 shown]
	v_add_f64_e32 v[44:45], v[120:121], v[44:45]
	v_add_f64_e32 v[62:63], v[122:123], v[102:103]
	;; [unrolled: 1-line block ×13, first 2 shown]
	v_mul_f64_e32 v[40:41], s[28:29], v[42:43]
	v_mul_f64_e32 v[60:61], s[34:35], v[42:43]
	;; [unrolled: 1-line block ×3, first 2 shown]
	v_fma_f64 v[96:97], v[34:35], s[22:23], v[52:53]
	v_fma_f64 v[52:53], v[34:35], s[24:25], v[52:53]
	v_fma_f64 v[100:101], v[34:35], s[38:39], v[54:55]
	v_fma_f64 v[54:55], v[34:35], s[26:27], v[54:55]
	v_fma_f64 v[106:107], v[34:35], s[10:11], v[112:113]
	v_fma_f64 v[108:109], v[34:35], s[4:5], v[112:113]
	v_fma_f64 v[110:111], v[34:35], s[12:13], v[132:133]
	v_fma_f64 v[112:113], v[34:35], s[18:19], v[132:133]
	v_fma_f64 v[120:121], v[34:35], s[42:43], v[134:135]
	v_fma_f64 v[122:123], v[34:35], s[40:41], v[134:135]
	v_fma_f64 v[124:125], v[34:35], s[20:21], v[56:57]
	v_fma_f64 v[34:35], v[34:35], s[14:15], v[56:57]
	v_add_f64_e32 v[44:45], v[136:137], v[44:45]
	v_add_f64_e32 v[56:57], v[138:139], v[62:63]
	v_add_f64_e32 v[62:63], v[64:65], v[86:87]
	v_add_f64_e32 v[64:65], v[140:141], v[94:95]
	v_add_f64_e32 v[86:87], v[142:143], v[102:103]
	v_add_f64_e32 v[90:91], v[116:117], v[90:91]
	v_add_f64_e32 v[94:95], v[144:145], v[98:99]
	v_add_f64_e32 v[98:99], v[146:147], v[104:105]
	v_add_f64_e32 v[24:25], v[24:25], v[26:27]
	v_add_f64_e32 v[26:27], v[118:119], v[66:67]
	v_add_f64_e32 v[66:67], v[114:115], v[88:89]
	v_add_f64_e32 v[0:1], v[58:59], v[0:1]
	v_add_f64_e32 v[84:85], v[84:85], v[30:31]
	v_add_f64_e32 v[30:31], v[36:37], v[30:31]
	v_mul_f64_e32 v[36:37], s[36:37], v[42:43]
	v_fma_f64 v[114:115], v[38:39], s[18:19], v[40:41]
	v_fma_f64 v[40:41], v[38:39], s[12:13], v[40:41]
	;; [unrolled: 1-line block ×6, first 2 shown]
	v_add_f64_e32 v[54:55], v[54:55], v[62:63]
	v_add_f64_e32 v[62:63], v[110:111], v[86:87]
	;; [unrolled: 1-line block ×8, first 2 shown]
	v_mul_f64_e32 v[84:85], s[44:45], v[42:43]
	v_mul_f64_e32 v[42:43], s[30:31], v[42:43]
	;; [unrolled: 1-line block ×6, first 2 shown]
	v_fma_f64 v[104:105], v[38:39], s[26:27], v[36:37]
	v_fma_f64 v[36:37], v[38:39], s[38:39], v[36:37]
	v_add_f64_e32 v[40:41], v[40:41], v[54:55]
	v_add_f64_e32 v[26:27], v[92:93], v[26:27]
	;; [unrolled: 1-line block ×4, first 2 shown]
	v_mul_f64_e32 v[32:33], s[0:1], v[30:31]
	v_mul_f64_e32 v[30:31], s[28:29], v[30:31]
	v_fma_f64 v[118:119], v[38:39], s[42:43], v[84:85]
	v_fma_f64 v[84:85], v[38:39], s[40:41], v[84:85]
	;; [unrolled: 1-line block ×4, first 2 shown]
	v_add_f64_e32 v[42:43], v[96:97], v[44:45]
	v_add_f64_e32 v[44:45], v[100:101], v[56:57]
	;; [unrolled: 1-line block ×5, first 2 shown]
	v_fma_f64 v[66:67], v[20:21], s[26:27], v[58:59]
	v_fma_f64 v[58:59], v[20:21], s[38:39], v[58:59]
	;; [unrolled: 1-line block ×6, first 2 shown]
	v_add_f64_e32 v[0:1], v[36:37], v[0:1]
	v_add_f64_e32 v[18:19], v[28:29], v[18:19]
	v_fma_f64 v[28:29], v[20:21], s[40:41], v[22:23]
	v_fma_f64 v[22:23], v[20:21], s[42:43], v[22:23]
	;; [unrolled: 1-line block ×6, first 2 shown]
	v_add_f64_e32 v[30:31], v[104:105], v[42:43]
	v_add_f64_e32 v[42:43], v[114:115], v[44:45]
	;; [unrolled: 1-line block ×22, first 2 shown]
	v_mul_u32_u24_e32 v16, 0x3a8, v79
	s_delay_alu instid0(VALU_DEP_1)
	v_add3_u32 v16, 0, v16, v80
	ds_store_2addr_b64 v16, v[28:29], v[32:33] offset0:18 offset1:27
	ds_store_2addr_b64 v16, v[36:37], v[40:41] offset0:36 offset1:45
	;; [unrolled: 1-line block ×5, first 2 shown]
	ds_store_2addr_b64 v16, v[14:15], v[18:19] offset1:9
	ds_store_b64 v16, v[0:1] offset:864
.LBB0_21:
	s_or_b32 exec_lo, exec_lo, s33
	v_mul_u32_u24_e32 v0, 0x8c09, v76
	v_dual_mov_b32 v19, 0 :: v_dual_lshlrev_b32 v18, 1, v72
	global_wb scope:SCOPE_SE
	s_wait_dscnt 0x0
	s_barrier_signal -1
	v_lshrrev_b32_e32 v0, 22, v0
	s_barrier_wait -1
	global_inv scope:SCOPE_SE
	s_mov_b32 s5, 0x3febb67a
	v_mul_lo_u16 v0, 0x75, v0
	s_delay_alu instid0(VALU_DEP_1) | instskip(SKIP_1) | instid1(VALU_DEP_2)
	v_sub_nc_u16 v14, v74, v0
	v_lshlrev_b64_e32 v[0:1], 4, v[18:19]
	v_and_b32_e32 v18, 0xffff, v14
	s_delay_alu instid0(VALU_DEP_2) | instskip(SKIP_1) | instid1(VALU_DEP_3)
	v_add_co_u32 v20, s0, s8, v0
	s_wait_alu 0xf1ff
	v_add_co_ci_u32_e64 v21, s0, s9, v1, s0
	s_delay_alu instid0(VALU_DEP_3)
	v_lshlrev_b32_e32 v0, 5, v18
	s_mov_b32 s0, 0xe8584caa
	s_clause 0x3
	global_load_b128 v[14:17], v[20:21], off offset:1824
	global_load_b128 v[22:25], v[20:21], off offset:1840
	global_load_b128 v[26:29], v0, s[8:9] offset:1824
	global_load_b128 v[30:33], v0, s[8:9] offset:1840
	ds_load_2addr_b64 v[34:37], v81 offset0:95 offset1:212
	ds_load_2addr_b64 v[38:41], v82 offset0:73 offset1:190
	;; [unrolled: 1-line block ×3, first 2 shown]
	s_mov_b32 s1, 0xbfebb67a
	s_wait_alu 0xfffe
	s_mov_b32 s4, s0
	v_lshl_add_u32 v18, v18, 3, 0
	s_wait_loadcnt_dscnt 0x302
	v_mul_f64_e32 v[0:1], v[34:35], v[16:17]
	s_wait_loadcnt_dscnt 0x201
	v_mul_f64_e32 v[52:53], v[40:41], v[24:25]
	v_mul_f64_e32 v[54:55], v[36:37], v[16:17]
	s_wait_dscnt 0x0
	v_mul_f64_e32 v[56:57], v[42:43], v[24:25]
	s_wait_loadcnt 0x1
	v_mul_f64_e32 v[58:59], v[38:39], v[28:29]
	s_wait_loadcnt 0x0
	v_mul_f64_e32 v[60:61], v[44:45], v[32:33]
	v_mul_f64_e32 v[62:63], v[2:3], v[16:17]
	;; [unrolled: 1-line block ×7, first 2 shown]
	v_fma_f64 v[0:1], v[2:3], v[14:15], v[0:1]
	v_fma_f64 v[2:3], v[8:9], v[22:23], v[52:53]
	;; [unrolled: 1-line block ×6, first 2 shown]
	v_fma_f64 v[12:13], v[34:35], v[14:15], -v[62:63]
	v_fma_f64 v[34:35], v[40:41], v[22:23], -v[64:65]
	v_fma_f64 v[14:15], v[36:37], v[14:15], -v[16:17]
	v_fma_f64 v[16:17], v[42:43], v[22:23], -v[24:25]
	v_fma_f64 v[22:23], v[38:39], v[26:27], -v[28:29]
	v_fma_f64 v[24:25], v[44:45], v[30:31], -v[32:33]
	ds_load_b64 v[40:41], v75
	ds_load_b64 v[42:43], v77
	;; [unrolled: 1-line block ×3, first 2 shown]
	global_wb scope:SCOPE_SE
	s_wait_dscnt 0x0
	s_barrier_signal -1
	s_barrier_wait -1
	global_inv scope:SCOPE_SE
	v_add_f64_e32 v[52:53], v[70:71], v[0:1]
	v_add_f64_e32 v[26:27], v[0:1], v[2:3]
	;; [unrolled: 1-line block ×6, first 2 shown]
	v_add_f64_e64 v[0:1], v[0:1], -v[2:3]
	v_add_f64_e32 v[32:33], v[12:13], v[34:35]
	v_add_f64_e64 v[54:55], v[12:13], -v[34:35]
	v_add_f64_e32 v[36:37], v[14:15], v[16:17]
	;; [unrolled: 2-line block ×4, first 2 shown]
	v_add_f64_e32 v[22:23], v[44:45], v[22:23]
	v_add_f64_e32 v[14:15], v[42:43], v[14:15]
	v_add_f64_e64 v[4:5], v[4:5], -v[8:9]
	v_add_f64_e64 v[6:7], v[6:7], -v[10:11]
	v_add_f64_e32 v[2:3], v[52:53], v[2:3]
	v_fma_f64 v[26:27], v[26:27], -0.5, v[70:71]
	v_add_f64_e32 v[8:9], v[56:57], v[8:9]
	v_fma_f64 v[28:29], v[28:29], -0.5, v[68:69]
	;; [unrolled: 2-line block ×3, first 2 shown]
	v_add_nc_u32_e32 v56, 0x400, v75
	v_fma_f64 v[32:33], v[32:33], -0.5, v[40:41]
	v_add_nc_u32_e32 v57, 0xc00, v75
	v_fma_f64 v[36:37], v[36:37], -0.5, v[42:43]
	v_add_nc_u32_e32 v58, 0x1400, v18
	v_fma_f64 v[38:39], v[38:39], -0.5, v[44:45]
	v_add_f64_e32 v[34:35], v[12:13], v[34:35]
	v_add_f64_e32 v[22:23], v[22:23], v[24:25]
	;; [unrolled: 1-line block ×3, first 2 shown]
	v_fma_f64 v[40:41], v[54:55], s[0:1], v[26:27]
	s_wait_alu 0xfffe
	v_fma_f64 v[26:27], v[54:55], s[4:5], v[26:27]
	v_fma_f64 v[42:43], v[60:61], s[0:1], v[28:29]
	;; [unrolled: 1-line block ×11, first 2 shown]
	ds_store_2addr_b64 v75, v[2:3], v[40:41] offset1:117
	ds_store_2addr_b64 v56, v[26:27], v[8:9] offset0:106 offset1:223
	ds_store_2addr_b64 v57, v[42:43], v[28:29] offset0:84 offset1:201
	;; [unrolled: 1-line block ×3, first 2 shown]
	ds_store_b64 v18, v[30:31] offset:7488
	global_wb scope:SCOPE_SE
	s_wait_dscnt 0x0
	s_barrier_signal -1
	s_barrier_wait -1
	global_inv scope:SCOPE_SE
	ds_load_2addr_b64 v[0:3], v81 offset0:95 offset1:212
	ds_load_2addr_b64 v[8:11], v82 offset0:73 offset1:190
	;; [unrolled: 1-line block ×3, first 2 shown]
	ds_load_b64 v[16:17], v75
	ds_load_b64 v[12:13], v77
	;; [unrolled: 1-line block ×3, first 2 shown]
	global_wb scope:SCOPE_SE
	s_wait_dscnt 0x0
	s_barrier_signal -1
	s_barrier_wait -1
	global_inv scope:SCOPE_SE
	ds_store_2addr_b64 v75, v[34:35], v[24:25] offset1:117
	ds_store_2addr_b64 v56, v[32:33], v[46:47] offset0:106 offset1:223
	ds_store_2addr_b64 v57, v[52:53], v[36:37] offset0:84 offset1:201
	;; [unrolled: 1-line block ×3, first 2 shown]
	ds_store_b64 v18, v[38:39] offset:7488
	global_wb scope:SCOPE_SE
	s_wait_dscnt 0x0
	s_barrier_signal -1
	s_barrier_wait -1
	global_inv scope:SCOPE_SE
	s_and_saveexec_b32 s10, vcc_lo
	s_cbranch_execz .LBB0_23
; %bb.22:
	v_lshlrev_b32_e32 v18, 1, v74
	s_clause 0x1
	global_load_b128 v[22:25], v[20:21], off offset:5584
	global_load_b128 v[26:29], v[20:21], off offset:5568
	v_add_nc_u32_e32 v42, 0x800, v75
	v_add_nc_u32_e32 v46, 0x1000, v75
	;; [unrolled: 1-line block ×3, first 2 shown]
	v_lshlrev_b64_e32 v[30:31], 4, v[18:19]
	v_lshlrev_b32_e32 v18, 1, v73
	v_mul_hi_u32 v62, 0x756cac21, v72
	v_mul_lo_u32 v76, s3, v50
	v_mul_lo_u32 v83, s2, v51
	v_add_nc_u32_e32 v80, 0xea, v72
	v_lshlrev_b64_e32 v[18:19], 4, v[18:19]
	v_add_co_u32 v30, vcc_lo, s8, v30
	s_wait_alu 0xfffd
	v_add_co_ci_u32_e32 v31, vcc_lo, s9, v31, vcc_lo
	v_sub_nc_u32_e32 v60, v72, v62
	s_delay_alu instid0(VALU_DEP_4)
	v_add_co_u32 v38, vcc_lo, s8, v18
	s_wait_alu 0xfffd
	v_add_co_ci_u32_e32 v39, vcc_lo, s9, v19, vcc_lo
	s_clause 0x3
	global_load_b128 v[18:21], v[30:31], off offset:5568
	global_load_b128 v[30:33], v[30:31], off offset:5584
	global_load_b128 v[34:37], v[38:39], off offset:5568
	global_load_b128 v[38:41], v[38:39], off offset:5584
	ds_load_2addr_b64 v[42:45], v42 offset0:95 offset1:212
	ds_load_2addr_b64 v[52:55], v46 offset0:73 offset1:190
	;; [unrolled: 1-line block ×3, first 2 shown]
	v_mad_co_u64_u32 v[46:47], null, s2, v50, 0
	v_lshrrev_b32_e32 v63, 1, v60
	v_add_nc_u32_e32 v79, 0x75, v72
	v_lshlrev_b64_e32 v[48:49], 4, v[48:49]
	v_mul_hi_u32 v82, 0x756cac21, v80
	ds_load_b64 v[50:51], v78
	ds_load_b64 v[60:61], v77
	v_add_nc_u32_e32 v84, v63, v62
	v_add3_u32 v47, v47, v83, v76
	v_mul_hi_u32 v81, 0x756cac21, v79
	ds_load_b64 v[75:76], v75
	v_lshrrev_b32_e32 v83, 8, v84
	v_lshlrev_b64_e32 v[46:47], 4, v[46:47]
	v_sub_nc_u32_e32 v78, v80, v82
	v_sub_nc_u32_e32 v77, v79, v81
	s_delay_alu instid0(VALU_DEP_3) | instskip(SKIP_1) | instid1(VALU_DEP_4)
	v_add_co_u32 v46, vcc_lo, s6, v46
	s_wait_alu 0xfffd
	v_add_co_ci_u32_e32 v47, vcc_lo, s7, v47, vcc_lo
	v_lshrrev_b32_e32 v78, 1, v78
	s_delay_alu instid0(VALU_DEP_3) | instskip(SKIP_1) | instid1(VALU_DEP_3)
	v_add_co_u32 v89, vcc_lo, v46, v48
	s_wait_alu 0xfffd
	v_add_co_ci_u32_e32 v90, vcc_lo, v47, v49, vcc_lo
	v_lshrrev_b32_e32 v77, 1, v77
	v_add_nc_u32_e32 v78, v78, v82
	s_delay_alu instid0(VALU_DEP_2) | instskip(SKIP_1) | instid1(VALU_DEP_3)
	v_add_nc_u32_e32 v77, v77, v81
	v_mul_u32_u24_e32 v81, 0x15f, v83
	v_lshrrev_b32_e32 v78, 8, v78
	s_delay_alu instid0(VALU_DEP_3) | instskip(NEXT) | instid1(VALU_DEP_3)
	v_lshrrev_b32_e32 v77, 8, v77
	v_sub_nc_u32_e32 v72, v72, v81
	s_delay_alu instid0(VALU_DEP_3) | instskip(NEXT) | instid1(VALU_DEP_3)
	v_mul_u32_u24_e32 v82, 0x15f, v78
	v_mul_u32_u24_e32 v81, 0x15f, v77
	s_delay_alu instid0(VALU_DEP_3)
	v_mad_co_u64_u32 v[46:47], null, s16, v72, 0
	s_wait_loadcnt 0x5
	v_mul_f64_e32 v[64:65], v[10:11], v[24:25]
	s_wait_dscnt 0x4
	v_mul_f64_e32 v[24:25], v[54:55], v[24:25]
	s_wait_loadcnt 0x4
	v_mul_f64_e32 v[62:63], v[0:1], v[28:29]
	v_mul_f64_e32 v[28:29], v[42:43], v[28:29]
	s_wait_loadcnt 0x3
	v_mul_f64_e32 v[66:67], v[8:9], v[20:21]
	s_wait_loadcnt 0x2
	v_mul_f64_e32 v[68:69], v[6:7], v[32:33]
	v_mul_f64_e32 v[20:21], v[52:53], v[20:21]
	s_wait_dscnt 0x3
	v_mul_f64_e32 v[32:33], v[58:59], v[32:33]
	s_wait_loadcnt 0x1
	v_mul_f64_e32 v[70:71], v[2:3], v[36:37]
	s_wait_loadcnt 0x0
	v_mul_f64_e32 v[73:74], v[4:5], v[40:41]
	v_mul_f64_e32 v[36:37], v[44:45], v[36:37]
	;; [unrolled: 1-line block ×3, first 2 shown]
	v_fma_f64 v[48:49], v[54:55], v[22:23], -v[64:65]
	v_fma_f64 v[10:11], v[10:11], v[22:23], v[24:25]
	v_fma_f64 v[42:43], v[42:43], v[26:27], -v[62:63]
	v_fma_f64 v[0:1], v[0:1], v[26:27], v[28:29]
	v_fma_f64 v[22:23], v[52:53], v[18:19], -v[66:67]
	v_fma_f64 v[24:25], v[58:59], v[30:31], -v[68:69]
	v_fma_f64 v[8:9], v[8:9], v[18:19], v[20:21]
	v_fma_f64 v[18:19], v[6:7], v[30:31], v[32:33]
	v_fma_f64 v[6:7], v[44:45], v[34:35], -v[70:71]
	v_fma_f64 v[20:21], v[56:57], v[38:39], -v[73:74]
	v_fma_f64 v[2:3], v[2:3], v[34:35], v[36:37]
	v_fma_f64 v[26:27], v[4:5], v[38:39], v[40:41]
	v_sub_nc_u32_e32 v30, v80, v82
	s_delay_alu instid0(VALU_DEP_1) | instskip(SKIP_2) | instid1(VALU_DEP_3)
	v_mad_u32_u24 v69, 0x41d, v78, v30
	v_mov_b32_e32 v30, v47
	v_sub_nc_u32_e32 v28, v79, v81
	v_add_nc_u32_e32 v87, 0x15f, v69
	v_mad_co_u64_u32 v[33:34], null, s16, v69, 0
	s_delay_alu instid0(VALU_DEP_3) | instskip(SKIP_1) | instid1(VALU_DEP_4)
	v_mad_u32_u24 v68, 0x41d, v77, v28
	v_add_f64_e32 v[44:45], v[42:43], v[48:49]
	v_mad_co_u64_u32 v[40:41], null, s16, v87, 0
	v_add_nc_u32_e32 v67, 0x2be, v72
	s_delay_alu instid0(VALU_DEP_4) | instskip(SKIP_2) | instid1(VALU_DEP_4)
	v_mad_co_u64_u32 v[31:32], null, s16, v68, 0
	v_add_nc_u32_e32 v70, 0x15f, v68
	v_add_f64_e32 v[52:53], v[0:1], v[10:11]
	v_mad_co_u64_u32 v[28:29], null, s16, v67, 0
	v_add_nc_u32_e32 v71, 0x2be, v68
	v_add_nc_u32_e32 v88, 0x2be, v69
	v_mad_co_u64_u32 v[35:36], null, s17, v72, v[30:31]
	v_mad_co_u64_u32 v[36:37], null, s16, v70, 0
	v_add_nc_u32_e32 v83, 0x15f, v72
	v_add_f64_e32 v[56:57], v[22:23], v[24:25]
	v_mad_co_u64_u32 v[29:30], null, s17, v67, v[29:30]
	v_mov_b32_e32 v30, v34
	s_delay_alu instid0(VALU_DEP_4)
	v_mad_co_u64_u32 v[4:5], null, s16, v83, 0
	v_add_f64_e32 v[65:66], v[2:3], v[26:27]
	v_add_f64_e32 v[58:59], v[8:9], v[18:19]
	v_mov_b32_e32 v47, v35
	s_wait_dscnt 0x2
	v_add_f64_e32 v[77:78], v[50:51], v[22:23]
	s_wait_dscnt 0x0
	v_add_f64_e32 v[72:73], v[75:76], v[42:43]
	v_add_f64_e64 v[42:43], v[42:43], -v[48:49]
	v_mad_co_u64_u32 v[62:63], null, s17, v83, v[5:6]
	v_add_f64_e32 v[63:64], v[6:7], v[20:21]
	v_dual_mov_b32 v5, v32 :: v_dual_mov_b32 v32, v37
	v_add_f64_e32 v[83:84], v[12:13], v[2:3]
	v_add_f64_e32 v[79:80], v[14:15], v[8:9]
	;; [unrolled: 1-line block ×3, first 2 shown]
	s_delay_alu instid0(VALU_DEP_4)
	v_mad_co_u64_u32 v[34:35], null, s17, v68, v[5:6]
	v_mad_co_u64_u32 v[67:68], null, s17, v69, v[30:31]
	v_mov_b32_e32 v30, v41
	v_fma_f64 v[44:45], v[44:45], -0.5, v[75:76]
	v_mov_b32_e32 v5, v62
	v_add_f64_e64 v[85:86], v[6:7], -v[20:21]
	v_add_f64_e64 v[74:75], v[8:9], -v[18:19]
	v_mad_co_u64_u32 v[54:55], null, s16, v88, 0
	v_lshlrev_b64_e32 v[46:47], 4, v[46:47]
	s_delay_alu instid0(VALU_DEP_2)
	v_mov_b32_e32 v37, v55
	v_fma_f64 v[50:51], v[56:57], -0.5, v[50:51]
	v_add_f64_e64 v[56:57], v[2:3], -v[26:27]
	v_mad_co_u64_u32 v[2:3], null, s17, v87, v[30:31]
	v_lshlrev_b64_e32 v[3:4], 4, v[4:5]
	v_add_co_u32 v46, vcc_lo, v89, v46
	v_fma_f64 v[58:59], v[58:59], -0.5, v[14:15]
	s_wait_alu 0xfffd
	v_add_co_ci_u32_e32 v47, vcc_lo, v90, v47, vcc_lo
	v_mov_b32_e32 v41, v2
	v_mad_co_u64_u32 v[68:69], null, s17, v70, v[32:33]
	v_mov_b32_e32 v32, v34
	v_mov_b32_e32 v34, v67
	v_mad_co_u64_u32 v[38:39], null, s16, v71, 0
	v_fma_f64 v[60:61], v[63:64], -0.5, v[60:61]
	v_fma_f64 v[62:63], v[65:66], -0.5, v[12:13]
	v_add_co_u32 v87, vcc_lo, v89, v3
	v_add_f64_e32 v[2:3], v[72:73], v[48:49]
	v_add_f64_e32 v[8:9], v[83:84], v[26:27]
	v_mov_b32_e32 v35, v39
	v_mad_co_u64_u32 v[6:7], null, s17, v88, v[37:38]
	s_wait_alu 0xfffd
	v_add_co_ci_u32_e32 v88, vcc_lo, v90, v4, vcc_lo
	s_delay_alu instid0(VALU_DEP_3)
	v_mad_co_u64_u32 v[69:70], null, s17, v71, v[35:36]
	v_add_f64_e64 v[70:71], v[0:1], -v[10:11]
	v_add_f64_e32 v[0:1], v[16:17], v[0:1]
	v_fma_f64 v[16:17], v[52:53], -0.5, v[16:17]
	v_add_f64_e64 v[52:53], v[22:23], -v[24:25]
	v_add_f64_e32 v[4:5], v[79:80], v[18:19]
	v_lshlrev_b64_e32 v[66:67], 4, v[31:32]
	v_mov_b32_e32 v37, v68
	v_mov_b32_e32 v39, v69
	v_lshlrev_b64_e32 v[68:69], 4, v[33:34]
	v_lshlrev_b64_e32 v[64:65], 4, v[28:29]
	v_mov_b32_e32 v55, v6
	v_add_f64_e32 v[6:7], v[77:78], v[24:25]
	v_fma_f64 v[26:27], v[74:75], s[4:5], v[50:51]
	v_fma_f64 v[22:23], v[74:75], s[0:1], v[50:51]
	v_lshlrev_b64_e32 v[36:37], 4, v[36:37]
	v_lshlrev_b64_e32 v[38:39], 4, v[38:39]
	;; [unrolled: 1-line block ×3, first 2 shown]
	v_fma_f64 v[34:35], v[56:57], s[4:5], v[60:61]
	v_fma_f64 v[32:33], v[85:86], s[0:1], v[62:63]
	;; [unrolled: 1-line block ×5, first 2 shown]
	v_add_f64_e32 v[0:1], v[0:1], v[10:11]
	v_fma_f64 v[12:13], v[42:43], s[4:5], v[16:17]
	v_fma_f64 v[16:17], v[42:43], s[0:1], v[16:17]
	;; [unrolled: 1-line block ×3, first 2 shown]
	v_add_f64_e32 v[10:11], v[81:82], v[20:21]
	v_fma_f64 v[24:25], v[52:53], s[0:1], v[58:59]
	v_fma_f64 v[20:21], v[52:53], s[4:5], v[58:59]
	v_add_co_u32 v42, vcc_lo, v89, v64
	s_wait_alu 0xfffd
	v_add_co_ci_u32_e32 v43, vcc_lo, v90, v65, vcc_lo
	v_add_co_u32 v48, vcc_lo, v89, v66
	s_wait_alu 0xfffd
	v_add_co_ci_u32_e32 v49, vcc_lo, v90, v67, vcc_lo
	;; [unrolled: 3-line block ×4, first 2 shown]
	v_lshlrev_b64_e32 v[44:45], 4, v[54:55]
	v_add_co_u32 v38, vcc_lo, v89, v38
	s_wait_alu 0xfffd
	v_add_co_ci_u32_e32 v39, vcc_lo, v90, v39, vcc_lo
	v_add_co_u32 v40, vcc_lo, v89, v40
	s_wait_alu 0xfffd
	v_add_co_ci_u32_e32 v41, vcc_lo, v90, v41, vcc_lo
	;; [unrolled: 3-line block ×3, first 2 shown]
	s_clause 0x8
	global_store_b128 v[46:47], v[0:3], off
	global_store_b128 v[87:88], v[16:19], off
	;; [unrolled: 1-line block ×9, first 2 shown]
.LBB0_23:
	s_nop 0
	s_sendmsg sendmsg(MSG_DEALLOC_VGPRS)
	s_endpgm
	.section	.rodata,"a",@progbits
	.p2align	6, 0x0
	.amdhsa_kernel fft_rtc_back_len1053_factors_3_3_13_3_3_wgs_117_tpt_117_halfLds_dp_op_CI_CI_sbrr_dirReg
		.amdhsa_group_segment_fixed_size 0
		.amdhsa_private_segment_fixed_size 0
		.amdhsa_kernarg_size 104
		.amdhsa_user_sgpr_count 2
		.amdhsa_user_sgpr_dispatch_ptr 0
		.amdhsa_user_sgpr_queue_ptr 0
		.amdhsa_user_sgpr_kernarg_segment_ptr 1
		.amdhsa_user_sgpr_dispatch_id 0
		.amdhsa_user_sgpr_private_segment_size 0
		.amdhsa_wavefront_size32 1
		.amdhsa_uses_dynamic_stack 0
		.amdhsa_enable_private_segment 0
		.amdhsa_system_sgpr_workgroup_id_x 1
		.amdhsa_system_sgpr_workgroup_id_y 0
		.amdhsa_system_sgpr_workgroup_id_z 0
		.amdhsa_system_sgpr_workgroup_info 0
		.amdhsa_system_vgpr_workitem_id 0
		.amdhsa_next_free_vgpr 163
		.amdhsa_next_free_sgpr 46
		.amdhsa_reserve_vcc 1
		.amdhsa_float_round_mode_32 0
		.amdhsa_float_round_mode_16_64 0
		.amdhsa_float_denorm_mode_32 3
		.amdhsa_float_denorm_mode_16_64 3
		.amdhsa_fp16_overflow 0
		.amdhsa_workgroup_processor_mode 1
		.amdhsa_memory_ordered 1
		.amdhsa_forward_progress 0
		.amdhsa_round_robin_scheduling 0
		.amdhsa_exception_fp_ieee_invalid_op 0
		.amdhsa_exception_fp_denorm_src 0
		.amdhsa_exception_fp_ieee_div_zero 0
		.amdhsa_exception_fp_ieee_overflow 0
		.amdhsa_exception_fp_ieee_underflow 0
		.amdhsa_exception_fp_ieee_inexact 0
		.amdhsa_exception_int_div_zero 0
	.end_amdhsa_kernel
	.text
.Lfunc_end0:
	.size	fft_rtc_back_len1053_factors_3_3_13_3_3_wgs_117_tpt_117_halfLds_dp_op_CI_CI_sbrr_dirReg, .Lfunc_end0-fft_rtc_back_len1053_factors_3_3_13_3_3_wgs_117_tpt_117_halfLds_dp_op_CI_CI_sbrr_dirReg
                                        ; -- End function
	.section	.AMDGPU.csdata,"",@progbits
; Kernel info:
; codeLenInByte = 10192
; NumSgprs: 48
; NumVgprs: 163
; ScratchSize: 0
; MemoryBound: 1
; FloatMode: 240
; IeeeMode: 1
; LDSByteSize: 0 bytes/workgroup (compile time only)
; SGPRBlocks: 5
; VGPRBlocks: 20
; NumSGPRsForWavesPerEU: 48
; NumVGPRsForWavesPerEU: 163
; Occupancy: 9
; WaveLimiterHint : 1
; COMPUTE_PGM_RSRC2:SCRATCH_EN: 0
; COMPUTE_PGM_RSRC2:USER_SGPR: 2
; COMPUTE_PGM_RSRC2:TRAP_HANDLER: 0
; COMPUTE_PGM_RSRC2:TGID_X_EN: 1
; COMPUTE_PGM_RSRC2:TGID_Y_EN: 0
; COMPUTE_PGM_RSRC2:TGID_Z_EN: 0
; COMPUTE_PGM_RSRC2:TIDIG_COMP_CNT: 0
	.text
	.p2alignl 7, 3214868480
	.fill 96, 4, 3214868480
	.type	__hip_cuid_81b666a75a5495f3,@object ; @__hip_cuid_81b666a75a5495f3
	.section	.bss,"aw",@nobits
	.globl	__hip_cuid_81b666a75a5495f3
__hip_cuid_81b666a75a5495f3:
	.byte	0                               ; 0x0
	.size	__hip_cuid_81b666a75a5495f3, 1

	.ident	"AMD clang version 19.0.0git (https://github.com/RadeonOpenCompute/llvm-project roc-6.4.0 25133 c7fe45cf4b819c5991fe208aaa96edf142730f1d)"
	.section	".note.GNU-stack","",@progbits
	.addrsig
	.addrsig_sym __hip_cuid_81b666a75a5495f3
	.amdgpu_metadata
---
amdhsa.kernels:
  - .args:
      - .actual_access:  read_only
        .address_space:  global
        .offset:         0
        .size:           8
        .value_kind:     global_buffer
      - .offset:         8
        .size:           8
        .value_kind:     by_value
      - .actual_access:  read_only
        .address_space:  global
        .offset:         16
        .size:           8
        .value_kind:     global_buffer
      - .actual_access:  read_only
        .address_space:  global
        .offset:         24
        .size:           8
        .value_kind:     global_buffer
      - .actual_access:  read_only
        .address_space:  global
        .offset:         32
        .size:           8
        .value_kind:     global_buffer
      - .offset:         40
        .size:           8
        .value_kind:     by_value
      - .actual_access:  read_only
        .address_space:  global
        .offset:         48
        .size:           8
        .value_kind:     global_buffer
      - .actual_access:  read_only
        .address_space:  global
        .offset:         56
        .size:           8
        .value_kind:     global_buffer
      - .offset:         64
        .size:           4
        .value_kind:     by_value
      - .actual_access:  read_only
        .address_space:  global
        .offset:         72
        .size:           8
        .value_kind:     global_buffer
      - .actual_access:  read_only
        .address_space:  global
        .offset:         80
        .size:           8
        .value_kind:     global_buffer
      - .actual_access:  read_only
        .address_space:  global
        .offset:         88
        .size:           8
        .value_kind:     global_buffer
      - .actual_access:  write_only
        .address_space:  global
        .offset:         96
        .size:           8
        .value_kind:     global_buffer
    .group_segment_fixed_size: 0
    .kernarg_segment_align: 8
    .kernarg_segment_size: 104
    .language:       OpenCL C
    .language_version:
      - 2
      - 0
    .max_flat_workgroup_size: 117
    .name:           fft_rtc_back_len1053_factors_3_3_13_3_3_wgs_117_tpt_117_halfLds_dp_op_CI_CI_sbrr_dirReg
    .private_segment_fixed_size: 0
    .sgpr_count:     48
    .sgpr_spill_count: 0
    .symbol:         fft_rtc_back_len1053_factors_3_3_13_3_3_wgs_117_tpt_117_halfLds_dp_op_CI_CI_sbrr_dirReg.kd
    .uniform_work_group_size: 1
    .uses_dynamic_stack: false
    .vgpr_count:     163
    .vgpr_spill_count: 0
    .wavefront_size: 32
    .workgroup_processor_mode: 1
amdhsa.target:   amdgcn-amd-amdhsa--gfx1201
amdhsa.version:
  - 1
  - 2
...

	.end_amdgpu_metadata
